;; amdgpu-corpus repo=ROCm/rocFFT kind=compiled arch=gfx906 opt=O3
	.text
	.amdgcn_target "amdgcn-amd-amdhsa--gfx906"
	.amdhsa_code_object_version 6
	.protected	bluestein_single_back_len144_dim1_sp_op_CI_CI ; -- Begin function bluestein_single_back_len144_dim1_sp_op_CI_CI
	.globl	bluestein_single_back_len144_dim1_sp_op_CI_CI
	.p2align	8
	.type	bluestein_single_back_len144_dim1_sp_op_CI_CI,@function
bluestein_single_back_len144_dim1_sp_op_CI_CI: ; @bluestein_single_back_len144_dim1_sp_op_CI_CI
; %bb.0:
	v_mul_u32_u24_e32 v1, 0x1556, v0
	s_load_dwordx4 s[16:19], s[4:5], 0x28
	v_lshrrev_b32_e32 v1, 16, v1
	v_mad_u64_u32 v[52:53], s[0:1], s6, 10, v[1:2]
	v_mov_b32_e32 v53, 0
	s_waitcnt lgkmcnt(0)
	v_cmp_gt_u64_e32 vcc, s[16:17], v[52:53]
	s_and_saveexec_b64 s[0:1], vcc
	s_cbranch_execz .LBB0_2
; %bb.1:
	s_load_dwordx4 s[0:3], s[4:5], 0x18
	s_load_dwordx4 s[8:11], s[4:5], 0x0
	v_mul_lo_u16_e32 v1, 12, v1
	v_sub_u16_e32 v63, v0, v1
	v_mov_b32_e32 v7, s19
	s_waitcnt lgkmcnt(0)
	s_load_dwordx4 s[12:15], s[0:1], 0x0
	v_or_b32_e32 v65, 48, v63
	s_add_u32 s6, s8, 0x480
	s_addc_u32 s7, s9, 0
	v_or_b32_e32 v66, 0x60, v63
	s_waitcnt lgkmcnt(0)
	v_mad_u64_u32 v[0:1], s[0:1], s14, v52, 0
	v_mad_u64_u32 v[2:3], s[0:1], s12, v63, 0
	s_mul_i32 s14, s13, 0xc0
	v_mov_b32_e32 v64, 0x180
	v_mad_u64_u32 v[4:5], s[0:1], s15, v52, v[1:2]
	s_mul_hi_u32 s15, s12, 0xc0
	s_add_i32 s14, s15, s14
	v_mad_u64_u32 v[5:6], s[0:1], s13, v63, v[3:4]
	v_mov_b32_e32 v1, v4
	v_lshlrev_b64 v[0:1], 3, v[0:1]
	v_mov_b32_e32 v3, v5
	v_add_co_u32_e32 v12, vcc, s18, v0
	v_addc_co_u32_e32 v13, vcc, v7, v1, vcc
	v_lshlrev_b64 v[0:1], 3, v[2:3]
	v_mad_u64_u32 v[4:5], s[0:1], s12, v65, 0
	v_add_co_u32_e32 v0, vcc, v12, v0
	v_addc_co_u32_e32 v1, vcc, v13, v1, vcc
	s_mul_i32 s15, s12, 0xc0
	global_load_dwordx2 v[2:3], v[0:1], off
	v_mov_b32_e32 v7, s14
	v_add_co_u32_e32 v0, vcc, s15, v0
	v_mad_u64_u32 v[5:6], s[0:1], s13, v65, v[5:6]
	v_addc_co_u32_e32 v1, vcc, v1, v7, vcc
	v_mad_u64_u32 v[6:7], s[0:1], s12, v66, 0
	v_mad_u64_u32 v[8:9], s[0:1], s12, v64, v[0:1]
	s_mul_i32 s16, s13, 0x180
	v_lshlrev_b32_e32 v70, 3, v63
	v_mad_u64_u32 v[10:11], s[0:1], s13, v66, v[7:8]
	v_lshlrev_b64 v[4:5], 3, v[4:5]
	v_add_u32_e32 v9, s16, v9
	global_load_dwordx2 v[28:29], v70, s[8:9]
	global_load_dwordx2 v[36:37], v70, s[8:9] offset:192
	global_load_dwordx2 v[30:31], v70, s[8:9] offset:384
	;; [unrolled: 1-line block ×3, first 2 shown]
	v_mov_b32_e32 v7, v10
	v_mad_u64_u32 v[10:11], s[0:1], s12, v64, v[8:9]
	v_add_co_u32_e32 v4, vcc, v12, v4
	v_lshlrev_b64 v[6:7], 3, v[6:7]
	v_addc_co_u32_e32 v5, vcc, v13, v5, vcc
	v_add_co_u32_e32 v6, vcc, v12, v6
	v_addc_co_u32_e32 v7, vcc, v13, v7, vcc
	global_load_dwordx2 v[12:13], v[0:1], off
	global_load_dwordx2 v[14:15], v[4:5], off
	global_load_dwordx2 v[17:18], v[6:7], off
	global_load_dwordx2 v[38:39], v70, s[8:9] offset:768
	v_add_u32_e32 v11, s16, v11
	v_mov_b32_e32 v67, 0xfffffca0
	global_load_dwordx2 v[4:5], v[8:9], off
	v_mad_u64_u32 v[0:1], s[0:1], s12, v67, v[10:11]
	global_load_dwordx2 v[32:33], v70, s[8:9] offset:960
	s_mul_i32 s0, s13, 0xfffffca0
	s_sub_i32 s0, s0, s12
	v_add_u32_e32 v1, s0, v1
	global_load_dwordx2 v[6:7], v[10:11], off
	global_load_dwordx2 v[8:9], v[0:1], off
	global_load_dwordx2 v[40:41], v70, s[8:9] offset:288
	global_load_dwordx2 v[44:45], v70, s[8:9] offset:96
	v_mov_b32_e32 v10, s14
	v_add_co_u32_e32 v0, vcc, s15, v0
	v_addc_co_u32_e32 v1, vcc, v1, v10, vcc
	global_load_dwordx2 v[10:11], v[0:1], off
	v_mov_b32_e32 v16, s14
	v_add_co_u32_e32 v0, vcc, s15, v0
	v_addc_co_u32_e32 v1, vcc, v1, v16, vcc
	global_load_dwordx2 v[19:20], v[0:1], off
	global_load_dwordx2 v[42:43], v70, s[8:9] offset:672
	global_load_dwordx2 v[48:49], v70, s[8:9] offset:480
	v_add_co_u32_e32 v0, vcc, s15, v0
	v_addc_co_u32_e32 v1, vcc, v1, v16, vcc
	global_load_dwordx2 v[21:22], v[0:1], off
	v_add_co_u32_e32 v0, vcc, s15, v0
	v_addc_co_u32_e32 v1, vcc, v1, v16, vcc
	global_load_dwordx2 v[23:24], v[0:1], off
	global_load_dwordx2 v[46:47], v70, s[8:9] offset:1056
	global_load_dwordx2 v[50:51], v70, s[8:9] offset:864
	v_add_co_u32_e32 v0, vcc, s15, v0
	v_addc_co_u32_e32 v1, vcc, v1, v16, vcc
	global_load_dwordx2 v[0:1], v[0:1], off
	s_mov_b32 s0, 0xcccccccd
	v_mul_hi_u32 v16, v52, s0
	s_load_dwordx4 s[0:3], s[2:3], 0x0
	v_add_co_u32_e32 v59, vcc, 12, v63
	v_lshrrev_b32_e32 v16, 3, v16
	v_mul_lo_u32 v16, v16, 10
	v_cmp_gt_u16_e32 vcc, 6, v63
	s_movk_i32 s12, 0xab
	s_load_dwordx2 s[4:5], s[4:5], 0x38
	v_sub_u32_e32 v16, v52, v16
	v_mul_u32_u24_e32 v16, 0x90, v16
	v_or_b32_e32 v26, v16, v63
	v_lshlrev_b32_e32 v69, 3, v26
	v_lshl_add_u32 v68, v16, 3, v70
	s_waitcnt vmcnt(22)
	v_mul_f32_e32 v25, v3, v29
	v_fmac_f32_e32 v25, v2, v28
	v_mul_f32_e32 v2, v2, v29
	v_fma_f32 v26, v3, v28, -v2
	ds_write_b64 v69, v[25:26]
	s_waitcnt vmcnt(18)
	v_mul_f32_e32 v2, v13, v37
	v_fmac_f32_e32 v2, v12, v36
	v_mul_f32_e32 v3, v12, v37
	s_waitcnt vmcnt(17)
	v_mul_f32_e32 v12, v15, v31
	v_fma_f32 v3, v13, v36, -v3
	v_fmac_f32_e32 v12, v14, v30
	v_mul_f32_e32 v13, v14, v31
	s_waitcnt vmcnt(14)
	v_mul_f32_e32 v14, v5, v35
	v_fmac_f32_e32 v14, v4, v34
	v_mul_f32_e32 v4, v4, v35
	v_fma_f32 v13, v15, v30, -v13
	v_fma_f32 v15, v5, v34, -v4
	v_mul_f32_e32 v4, v18, v39
	v_fmac_f32_e32 v4, v17, v38
	v_mul_f32_e32 v5, v17, v39
	s_waitcnt vmcnt(12)
	v_mul_f32_e32 v17, v7, v33
	v_fmac_f32_e32 v17, v6, v32
	v_mul_f32_e32 v6, v6, v33
	v_fma_f32 v5, v18, v38, -v5
	v_fma_f32 v18, v7, v32, -v6
	s_waitcnt vmcnt(9)
	v_mul_f32_e32 v6, v9, v45
	v_mul_f32_e32 v7, v8, v45
	v_fmac_f32_e32 v6, v8, v44
	v_fma_f32 v7, v9, v44, -v7
	ds_write2_b64 v68, v[6:7], v[2:3] offset0:12 offset1:24
	s_waitcnt vmcnt(8)
	v_mul_f32_e32 v2, v11, v41
	v_mul_f32_e32 v3, v10, v41
	v_fmac_f32_e32 v2, v10, v40
	v_fma_f32 v3, v11, v40, -v3
	ds_write2_b64 v68, v[2:3], v[12:13] offset0:36 offset1:48
	;; [unrolled: 6-line block ×5, first 2 shown]
	s_waitcnt vmcnt(0)
	v_mul_f32_e32 v2, v1, v47
	v_fmac_f32_e32 v2, v0, v46
	v_mul_f32_e32 v0, v0, v47
	v_fma_f32 v3, v1, v46, -v0
	ds_write_b64 v68, v[2:3] offset:1056
	s_waitcnt lgkmcnt(0)
	s_barrier
	ds_read2_b64 v[0:3], v68 offset0:12 offset1:24
	ds_read2_b64 v[4:7], v68 offset0:36 offset1:48
	ds_read_b64 v[26:27], v69
	ds_read2_b64 v[8:11], v68 offset0:84 offset1:96
	ds_read2_b64 v[12:15], v68 offset0:60 offset1:72
	;; [unrolled: 1-line block ×3, first 2 shown]
	ds_read_b64 v[57:58], v68 offset:1056
	s_waitcnt lgkmcnt(4)
	v_add_f32_e32 v21, v26, v6
	s_waitcnt lgkmcnt(3)
	v_add_f32_e32 v25, v21, v10
	v_add_f32_e32 v21, v6, v10
	v_fma_f32 v26, -0.5, v21, v26
	v_sub_f32_e32 v21, v7, v11
	v_mov_b32_e32 v53, v26
	v_fmac_f32_e32 v53, 0x3f5db3d7, v21
	v_fmac_f32_e32 v26, 0xbf5db3d7, v21
	v_add_f32_e32 v21, v27, v7
	v_add_f32_e32 v7, v7, v11
	v_fmac_f32_e32 v27, -0.5, v7
	v_sub_f32_e32 v6, v6, v10
	v_mov_b32_e32 v7, v27
	s_waitcnt lgkmcnt(1)
	v_add_f32_e32 v10, v14, v19
	v_fmac_f32_e32 v7, 0xbf5db3d7, v6
	v_fmac_f32_e32 v27, 0x3f5db3d7, v6
	v_add_f32_e32 v6, v2, v14
	v_fma_f32 v2, -0.5, v10, v2
	v_add_f32_e32 v54, v21, v11
	v_sub_f32_e32 v10, v15, v20
	v_mov_b32_e32 v11, v2
	v_fmac_f32_e32 v11, 0x3f5db3d7, v10
	v_fmac_f32_e32 v2, 0xbf5db3d7, v10
	v_add_f32_e32 v10, v3, v15
	v_add_f32_e32 v15, v15, v20
	v_fma_f32 v3, -0.5, v15, v3
	v_sub_f32_e32 v14, v14, v19
	v_mov_b32_e32 v15, v3
	v_fmac_f32_e32 v3, 0x3f5db3d7, v14
	v_mul_f32_e32 v55, -0.5, v2
	v_fmac_f32_e32 v15, 0xbf5db3d7, v14
	v_fmac_f32_e32 v55, 0x3f5db3d7, v3
	v_mul_f32_e32 v3, -0.5, v3
	v_add_f32_e32 v10, v10, v20
	v_mul_f32_e32 v14, 0x3f5db3d7, v15
	v_fmac_f32_e32 v3, 0xbf5db3d7, v2
	v_add_f32_e32 v2, v0, v12
	v_fmac_f32_e32 v14, 0.5, v11
	v_mul_f32_e32 v11, 0xbf5db3d7, v11
	v_add_f32_e32 v23, v26, v55
	v_add_f32_e32 v20, v54, v10
	v_sub_f32_e32 v55, v26, v55
	v_sub_f32_e32 v26, v54, v10
	v_add_f32_e32 v10, v2, v17
	v_add_f32_e32 v2, v12, v17
	v_fmac_f32_e32 v11, 0.5, v15
	v_fma_f32 v0, -0.5, v2, v0
	v_add_f32_e32 v22, v7, v11
	v_sub_f32_e32 v54, v7, v11
	v_sub_f32_e32 v2, v13, v18
	v_mov_b32_e32 v11, v0
	v_fmac_f32_e32 v11, 0x3f5db3d7, v2
	v_fmac_f32_e32 v0, 0xbf5db3d7, v2
	v_add_f32_e32 v2, v1, v13
	v_add_f32_e32 v21, v53, v14
	v_sub_f32_e32 v53, v53, v14
	v_add_f32_e32 v14, v2, v18
	v_add_f32_e32 v2, v13, v18
	v_fmac_f32_e32 v1, -0.5, v2
	v_sub_f32_e32 v2, v12, v17
	v_mov_b32_e32 v13, v1
	v_fmac_f32_e32 v13, 0xbf5db3d7, v2
	v_fmac_f32_e32 v1, 0x3f5db3d7, v2
	v_add_f32_e32 v2, v4, v8
	s_waitcnt lgkmcnt(0)
	v_add_f32_e32 v12, v2, v57
	v_add_f32_e32 v2, v8, v57
	;; [unrolled: 1-line block ×3, first 2 shown]
	v_sub_f32_e32 v56, v27, v3
	v_fma_f32 v3, -0.5, v2, v4
	v_sub_f32_e32 v2, v9, v58
	v_mov_b32_e32 v4, v3
	v_fmac_f32_e32 v4, 0x3f5db3d7, v2
	v_fmac_f32_e32 v3, 0xbf5db3d7, v2
	v_add_f32_e32 v2, v5, v9
	v_add_f32_e32 v15, v2, v58
	;; [unrolled: 1-line block ×3, first 2 shown]
	v_fmac_f32_e32 v5, -0.5, v2
	v_sub_f32_e32 v2, v8, v57
	v_mov_b32_e32 v9, v5
	v_fmac_f32_e32 v9, 0xbf5db3d7, v2
	v_fmac_f32_e32 v5, 0x3f5db3d7, v2
	v_mul_f32_e32 v18, -0.5, v3
	v_add_f32_e32 v6, v6, v19
	v_mul_f32_e32 v17, 0x3f5db3d7, v9
	v_fmac_f32_e32 v18, 0x3f5db3d7, v5
	v_add_f32_e32 v19, v25, v6
	v_sub_f32_e32 v25, v25, v6
	v_add_f32_e32 v6, v10, v12
	v_fmac_f32_e32 v17, 0.5, v4
	v_add_f32_e32 v2, v0, v18
	v_mul_f32_e32 v27, 0xbf5db3d7, v4
	v_sub_f32_e32 v4, v10, v12
	v_sub_f32_e32 v12, v0, v18
	v_mul_lo_u16_e32 v0, 6, v63
	v_add_lshl_u32 v74, v16, v0, 3
	v_mul_u32_u24_e32 v0, 6, v59
	v_fmac_f32_e32 v27, 0.5, v9
	v_mul_f32_e32 v57, -0.5, v5
	v_add_lshl_u32 v72, v16, v0, 3
	v_add_u32_e32 v0, -6, v63
	v_add_f32_e32 v8, v11, v17
	v_add_f32_e32 v9, v13, v27
	v_fmac_f32_e32 v57, 0xbf5db3d7, v3
	v_sub_f32_e32 v10, v11, v17
	v_sub_f32_e32 v11, v13, v27
	v_cndmask_b32_e32 v27, v0, v63, vcc
	v_add_f32_e32 v7, v14, v15
	v_add_f32_e32 v3, v1, v57
	v_sub_f32_e32 v13, v1, v57
	v_mul_i32_i24_e32 v1, 40, v27
	v_sub_f32_e32 v5, v14, v15
	s_barrier
	ds_write_b128 v74, v[19:22]
	ds_write_b128 v74, v[23:26] offset:16
	ds_write_b128 v74, v[53:56] offset:32
	ds_write_b128 v72, v[6:9]
	ds_write_b128 v72, v[2:5] offset:16
	ds_write_b128 v72, v[10:13] offset:32
	v_mul_hi_i32_i24_e32 v0, 40, v27
	v_mov_b32_e32 v2, s11
	v_add_co_u32_e32 v19, vcc, s10, v1
	v_addc_co_u32_e32 v20, vcc, v2, v0, vcc
	v_mul_lo_u16_sdwa v0, v59, s12 dst_sel:DWORD dst_unused:UNUSED_PAD src0_sel:BYTE_0 src1_sel:DWORD
	v_lshrrev_b16_e32 v17, 10, v0
	v_mul_lo_u16_e32 v0, 6, v17
	v_sub_u16_e32 v18, v59, v0
	s_waitcnt lgkmcnt(0)
	s_barrier
	v_and_b32_e32 v4, 0xff, v18
	global_load_dwordx4 v[0:3], v[19:20], off
	v_mad_u64_u32 v[53:54], s[12:13], v4, 40, s[10:11]
	global_load_dwordx4 v[4:7], v[53:54], off
	global_load_dwordx4 v[8:11], v[19:20], off offset:16
	global_load_dwordx4 v[12:15], v[53:54], off offset:16
	global_load_dwordx2 v[59:60], v[19:20], off offset:32
	ds_read2_b64 v[19:22], v68 offset0:36 offset1:48
	ds_read2_b64 v[23:26], v68 offset0:60 offset1:72
	;; [unrolled: 1-line block ×4, first 2 shown]
	global_load_dwordx2 v[53:54], v[53:54], off offset:32
	v_cmp_lt_u16_e32 vcc, 5, v63
	v_mad_legacy_u16 v17, v17, 36, v18
	v_and_b32_e32 v17, 0xff, v17
	s_waitcnt vmcnt(5) lgkmcnt(3)
	v_mul_f32_e32 v61, v22, v3
	v_fma_f32 v61, v21, v2, -v61
	v_mul_f32_e32 v21, v21, v3
	v_fmac_f32_e32 v21, v22, v2
	s_waitcnt vmcnt(4)
	v_mul_f32_e32 v22, v20, v5
	v_fma_f32 v62, v19, v4, -v22
	v_mul_f32_e32 v73, v19, v5
	s_waitcnt vmcnt(3) lgkmcnt(2)
	v_mul_f32_e32 v19, v26, v9
	v_fma_f32 v71, v25, v8, -v19
	v_mul_f32_e32 v19, v24, v7
	v_mul_f32_e32 v81, v23, v7
	v_fma_f32 v80, v23, v6, -v19
	v_fmac_f32_e32 v81, v24, v6
	ds_read_b64 v[23:24], v69
	v_fmac_f32_e32 v73, v20, v4
	s_waitcnt lgkmcnt(2)
	v_mul_f32_e32 v19, v58, v11
	s_waitcnt vmcnt(2)
	v_mul_f32_e32 v20, v56, v13
	v_fma_f32 v82, v57, v10, -v19
	v_mul_f32_e32 v19, v57, v11
	v_fma_f32 v57, v55, v12, -v20
	s_waitcnt vmcnt(1) lgkmcnt(1)
	v_mul_f32_e32 v20, v78, v60
	v_mul_f32_e32 v79, v25, v9
	v_fmac_f32_e32 v19, v58, v10
	v_mul_f32_e32 v58, v55, v13
	v_fma_f32 v55, v77, v59, -v20
	v_mul_f32_e32 v20, v76, v15
	v_fmac_f32_e32 v79, v26, v8
	ds_read_b64 v[25:26], v68 offset:1056
	v_fmac_f32_e32 v58, v56, v12
	v_mul_f32_e32 v56, v77, v60
	v_fma_f32 v77, v75, v14, -v20
	v_mul_f32_e32 v75, v75, v15
	s_waitcnt lgkmcnt(1)
	v_add_f32_e32 v20, v24, v21
	v_fmac_f32_e32 v56, v78, v59
	v_fmac_f32_e32 v75, v76, v14
	v_add_f32_e32 v76, v20, v19
	v_sub_f32_e32 v78, v21, v19
	v_add_f32_e32 v19, v21, v19
	v_fmac_f32_e32 v24, -0.5, v19
	ds_read2_b64 v[19:22], v68 offset0:12 offset1:24
	v_add_f32_e32 v83, v23, v61
	v_add_f32_e32 v83, v83, v82
	;; [unrolled: 1-line block ×3, first 2 shown]
	v_sub_f32_e32 v61, v61, v82
	s_waitcnt lgkmcnt(0)
	v_mul_f32_e32 v82, v22, v1
	v_fma_f32 v82, v21, v0, -v82
	v_add_f32_e32 v86, v71, v55
	v_add_f32_e32 v85, v82, v71
	v_fmac_f32_e32 v82, -0.5, v86
	v_mul_f32_e32 v86, v21, v1
	v_fmac_f32_e32 v86, v22, v0
	v_add_f32_e32 v21, v86, v79
	v_add_f32_e32 v87, v21, v56
	;; [unrolled: 1-line block ×3, first 2 shown]
	v_fmac_f32_e32 v86, -0.5, v21
	v_sub_f32_e32 v88, v79, v56
	v_add_f32_e32 v79, v85, v55
	v_sub_f32_e32 v85, v71, v55
	v_mov_b32_e32 v22, v86
	v_mov_b32_e32 v21, v82
	v_fmac_f32_e32 v22, 0xbf5db3d7, v85
	v_fmac_f32_e32 v21, 0x3f5db3d7, v88
	v_mul_f32_e32 v89, 0x3f5db3d7, v22
	v_fma_f32 v84, -0.5, v84, v23
	v_fmac_f32_e32 v89, 0.5, v21
	v_mul_f32_e32 v90, 0xbf5db3d7, v21
	v_cndmask_b32_e64 v21, 0, 36, vcc
	v_mov_b32_e32 v91, v84
	v_mov_b32_e32 v92, v24
	v_fmac_f32_e32 v90, 0.5, v22
	v_add_u32_e32 v27, v27, v21
	v_fmac_f32_e32 v91, 0x3f5db3d7, v78
	v_fmac_f32_e32 v92, 0xbf5db3d7, v61
	v_add_f32_e32 v21, v83, v79
	v_add_f32_e32 v22, v76, v87
	;; [unrolled: 1-line block ×4, first 2 shown]
	v_add_lshl_u32 v71, v16, v27, 3
	s_waitcnt vmcnt(0)
	s_barrier
	ds_write2_b64 v71, v[21:22], v[55:56] offset1:6
	v_mul_f32_e32 v21, v26, v54
	v_fma_f32 v93, v25, v53, -v21
	v_mul_f32_e32 v94, v25, v54
	v_add_f32_e32 v21, v81, v75
	v_fmac_f32_e32 v94, v26, v53
	v_add_f32_e32 v95, v20, v81
	v_fmac_f32_e32 v20, -0.5, v21
	v_add_f32_e32 v21, v57, v93
	v_add_f32_e32 v96, v62, v57
	v_fmac_f32_e32 v62, -0.5, v21
	v_add_f32_e32 v21, v58, v94
	v_add_f32_e32 v97, v73, v58
	v_fmac_f32_e32 v73, -0.5, v21
	v_sub_f32_e32 v101, v57, v93
	v_add_f32_e32 v21, v80, v77
	v_sub_f32_e32 v99, v58, v94
	v_mov_b32_e32 v102, v73
	v_fmac_f32_e32 v73, 0x3f5db3d7, v101
	v_fma_f32 v22, -0.5, v21, v19
	v_add_f32_e32 v19, v19, v80
	v_sub_f32_e32 v80, v80, v77
	v_mov_b32_e32 v100, v62
	v_fmac_f32_e32 v62, 0xbf5db3d7, v99
	v_mul_f32_e32 v23, -0.5, v73
	v_mov_b32_e32 v98, v20
	v_fmac_f32_e32 v20, 0x3f5db3d7, v80
	v_fmac_f32_e32 v23, 0xbf5db3d7, v62
	;; [unrolled: 1-line block ×5, first 2 shown]
	v_mul_f32_e32 v61, -0.5, v62
	v_add_f32_e32 v21, v20, v23
	v_sub_f32_e32 v23, v20, v23
	v_mul_f32_e32 v20, -0.5, v82
	v_mul_f32_e32 v26, -0.5, v86
	v_fmac_f32_e32 v61, 0x3f5db3d7, v73
	v_sub_f32_e32 v73, v81, v75
	v_fmac_f32_e32 v84, 0xbf5db3d7, v78
	v_fmac_f32_e32 v20, 0x3f5db3d7, v86
	;; [unrolled: 1-line block ×3, first 2 shown]
	v_sub_f32_e32 v55, v83, v79
	v_sub_f32_e32 v56, v76, v87
	v_mov_b32_e32 v79, v22
	v_fmac_f32_e32 v22, 0xbf5db3d7, v73
	v_add_f32_e32 v19, v19, v77
	v_add_f32_e32 v76, v95, v75
	;; [unrolled: 1-line block ×3, first 2 shown]
	v_fmac_f32_e32 v100, 0x3f5db3d7, v99
	v_fmac_f32_e32 v102, 0xbf5db3d7, v101
	v_add_f32_e32 v25, v24, v26
	v_sub_f32_e32 v27, v24, v26
	v_add_f32_e32 v24, v84, v20
	v_sub_f32_e32 v26, v84, v20
	v_add_f32_e32 v20, v22, v61
	v_sub_f32_e32 v22, v22, v61
	v_add_f32_e32 v61, v19, v75
	v_sub_f32_e32 v75, v19, v75
	v_fmac_f32_e32 v79, 0x3f5db3d7, v73
	v_mul_f32_e32 v19, 0x3f5db3d7, v102
	v_mul_f32_e32 v73, 0xbf5db3d7, v100
	v_add_f32_e32 v77, v97, v94
	v_fmac_f32_e32 v98, 0xbf5db3d7, v80
	v_fmac_f32_e32 v19, 0.5, v100
	v_fmac_f32_e32 v73, 0.5, v102
	v_add_f32_e32 v62, v76, v77
	v_sub_f32_e32 v76, v76, v77
	v_add_f32_e32 v77, v79, v19
	v_add_f32_e32 v78, v98, v73
	v_sub_f32_e32 v80, v98, v73
	v_add_lshl_u32 v73, v16, v17, 3
	v_sub_f32_e32 v57, v91, v89
	v_sub_f32_e32 v58, v92, v90
	;; [unrolled: 1-line block ×3, first 2 shown]
	ds_write2_b64 v71, v[24:25], v[55:56] offset0:12 offset1:18
	ds_write2_b64 v71, v[57:58], v[26:27] offset0:24 offset1:30
	ds_write2_b64 v73, v[61:62], v[77:78] offset1:6
	ds_write2_b64 v73, v[20:21], v[75:76] offset0:12 offset1:18
	ds_write2_b64 v73, v[79:80], v[22:23] offset0:24 offset1:30
	v_mad_u64_u32 v[75:76], s[10:11], v63, 24, s[10:11]
	s_waitcnt lgkmcnt(0)
	s_barrier
	global_load_dwordx4 v[24:27], v[75:76], off offset:240
	global_load_dwordx4 v[16:19], v[75:76], off offset:528
	global_load_dwordx2 v[55:56], v[75:76], off offset:256
	global_load_dwordx2 v[57:58], v[75:76], off offset:544
	global_load_dwordx4 v[20:23], v[75:76], off offset:816
	global_load_dwordx2 v[61:62], v[75:76], off offset:832
	ds_read2_b64 v[75:78], v68 offset0:36 offset1:48
	s_waitcnt vmcnt(5) lgkmcnt(0)
	v_mul_f32_e32 v79, v76, v25
	v_fma_f32 v83, v75, v24, -v79
	ds_read2_b64 v[79:82], v68 offset0:108 offset1:120
	v_mul_f32_e32 v84, v75, v25
	s_waitcnt vmcnt(4)
	v_mul_f32_e32 v75, v78, v17
	v_fma_f32 v87, v77, v16, -v75
	v_mul_f32_e32 v88, v77, v17
	s_waitcnt vmcnt(3) lgkmcnt(0)
	v_mul_f32_e32 v75, v80, v56
	v_fmac_f32_e32 v84, v76, v24
	v_fmac_f32_e32 v88, v78, v16
	v_fma_f32 v85, v79, v55, -v75
	ds_read2_b64 v[75:78], v68 offset0:60 offset1:72
	v_mul_f32_e32 v86, v79, v56
	s_waitcnt vmcnt(2)
	v_mul_f32_e32 v79, v82, v58
	v_mul_f32_e32 v90, v81, v58
	v_fma_f32 v89, v81, v57, -v79
	v_fmac_f32_e32 v90, v82, v57
	s_waitcnt lgkmcnt(0)
	v_mul_f32_e32 v79, v78, v27
	v_mul_f32_e32 v82, v77, v27
	v_fmac_f32_e32 v86, v80, v55
	v_fma_f32 v81, v77, v26, -v79
	v_fmac_f32_e32 v82, v78, v26
	ds_read2_b64 v[77:80], v68 offset0:84 offset1:96
	s_waitcnt vmcnt(1)
	v_mul_f32_e32 v91, v76, v21
	v_fma_f32 v91, v75, v20, -v91
	v_mul_f32_e32 v92, v75, v21
	v_fmac_f32_e32 v92, v76, v20
	s_waitcnt lgkmcnt(0)
	v_mul_f32_e32 v75, v78, v19
	v_fma_f32 v93, v77, v18, -v75
	ds_read_b64 v[75:76], v69
	v_mul_f32_e32 v94, v77, v19
	v_mul_f32_e32 v77, v80, v23
	;; [unrolled: 1-line block ×3, first 2 shown]
	v_fma_f32 v95, v79, v22, -v77
	v_fmac_f32_e32 v96, v80, v22
	ds_read_b64 v[79:80], v68 offset:1056
	s_waitcnt lgkmcnt(1)
	v_sub_f32_e32 v97, v75, v81
	v_sub_f32_e32 v98, v76, v82
	;; [unrolled: 1-line block ×4, first 2 shown]
	v_fmac_f32_e32 v94, v78, v18
	v_fma_f32 v75, v75, 2.0, -v97
	v_fma_f32 v76, v76, 2.0, -v98
	;; [unrolled: 1-line block ×4, first 2 shown]
	v_sub_f32_e32 v81, v75, v77
	v_sub_f32_e32 v82, v76, v78
	v_fma_f32 v83, v75, 2.0, -v81
	v_fma_f32 v84, v76, 2.0, -v82
	ds_read2_b64 v[75:78], v68 offset0:12 offset1:24
	ds_write_b64 v69, v[83:84]
	ds_write_b64 v68, v[81:82] offset:576
	v_sub_f32_e32 v81, v97, v86
	v_add_f32_e32 v82, v98, v85
	v_sub_f32_e32 v89, v87, v89
	s_waitcnt lgkmcnt(2)
	v_sub_f32_e32 v93, v75, v93
	v_sub_f32_e32 v94, v76, v94
	;; [unrolled: 1-line block ×3, first 2 shown]
	v_fma_f32 v83, v97, 2.0, -v81
	v_fma_f32 v84, v98, 2.0, -v82
	ds_write_b64 v68, v[81:82] offset:864
	v_sub_f32_e32 v81, v93, v90
	v_add_f32_e32 v82, v94, v89
	v_fma_f32 v85, v93, 2.0, -v81
	v_fma_f32 v86, v94, 2.0, -v82
	ds_write2_b64 v68, v[83:84], v[85:86] offset0:36 offset1:48
	v_fma_f32 v83, v75, 2.0, -v93
	s_waitcnt vmcnt(0)
	v_mul_f32_e32 v75, v80, v62
	v_fma_f32 v84, v76, 2.0, -v94
	v_sub_f32_e32 v85, v77, v95
	v_fma_f32 v95, v79, v61, -v75
	v_mul_f32_e32 v79, v79, v62
	v_fma_f32 v75, v87, 2.0, -v89
	v_fma_f32 v76, v88, 2.0, -v90
	v_sub_f32_e32 v86, v78, v96
	v_fmac_f32_e32 v79, v80, v61
	v_sub_f32_e32 v75, v83, v75
	v_sub_f32_e32 v76, v84, v76
	v_fma_f32 v93, v77, 2.0, -v85
	v_fma_f32 v94, v78, 2.0, -v86
	;; [unrolled: 1-line block ×4, first 2 shown]
	v_sub_f32_e32 v83, v91, v95
	v_sub_f32_e32 v84, v92, v79
	v_fma_f32 v79, v91, 2.0, -v83
	v_fma_f32 v80, v92, 2.0, -v84
	v_sub_f32_e32 v79, v93, v79
	v_sub_f32_e32 v80, v94, v80
	ds_write_b64 v68, v[81:82] offset:960
	v_fma_f32 v81, v93, 2.0, -v79
	v_fma_f32 v82, v94, 2.0, -v80
	ds_write2_b64 v68, v[77:78], v[81:82] offset0:12 offset1:24
	ds_write2_b64 v68, v[75:76], v[79:80] offset0:84 offset1:96
	v_sub_f32_e32 v75, v85, v84
	v_add_f32_e32 v76, v86, v83
	v_fma_f32 v77, v85, 2.0, -v75
	v_fma_f32 v78, v86, 2.0, -v76
	ds_write_b64 v68, v[77:78] offset:480
	ds_write_b64 v68, v[75:76] offset:1056
	s_waitcnt lgkmcnt(0)
	s_barrier
	global_load_dwordx2 v[75:76], v70, s[8:9] offset:1152
	global_load_dwordx2 v[79:80], v70, s[6:7] offset:192
	;; [unrolled: 1-line block ×12, first 2 shown]
	ds_read_b64 v[77:78], v69
	s_mul_i32 s8, s1, 0x180
	s_waitcnt vmcnt(11) lgkmcnt(0)
	v_mul_f32_e32 v70, v78, v76
	v_mul_f32_e32 v102, v77, v76
	v_fma_f32 v101, v77, v75, -v70
	v_fmac_f32_e32 v102, v78, v75
	ds_write_b64 v69, v[101:102]
	ds_read2_b64 v[75:78], v68 offset0:12 offset1:24
	s_waitcnt vmcnt(10) lgkmcnt(0)
	v_mul_f32_e32 v70, v78, v80
	v_mul_f32_e32 v102, v77, v80
	v_fma_f32 v101, v77, v79, -v70
	v_fmac_f32_e32 v102, v78, v79
	ds_read2_b64 v[77:80], v68 offset0:36 offset1:48
	s_waitcnt vmcnt(7)
	v_mul_f32_e32 v70, v76, v86
	v_fma_f32 v103, v75, v85, -v70
	v_mul_f32_e32 v104, v75, v86
	v_fmac_f32_e32 v104, v76, v85
	s_waitcnt lgkmcnt(0)
	v_mul_f32_e32 v70, v80, v82
	v_mul_f32_e32 v86, v79, v82
	v_fma_f32 v85, v79, v81, -v70
	v_fmac_f32_e32 v86, v80, v81
	ds_read2_b64 v[79:82], v68 offset0:60 offset1:72
	v_mul_f32_e32 v70, v78, v84
	v_mul_f32_e32 v106, v77, v84
	v_fma_f32 v105, v77, v83, -v70
	v_fmac_f32_e32 v106, v78, v83
	ds_read2_b64 v[75:78], v68 offset0:84 offset1:96
	s_waitcnt vmcnt(6) lgkmcnt(1)
	v_mul_f32_e32 v70, v82, v88
	v_fma_f32 v83, v81, v87, -v70
	v_mul_f32_e32 v84, v81, v88
	s_waitcnt vmcnt(3)
	v_mul_f32_e32 v70, v80, v94
	v_fmac_f32_e32 v84, v82, v87
	v_fma_f32 v81, v79, v93, -v70
	v_mul_f32_e32 v82, v79, v94
	s_waitcnt lgkmcnt(0)
	v_mul_f32_e32 v70, v78, v92
	v_mul_f32_e32 v88, v77, v92
	v_fmac_f32_e32 v82, v80, v93
	v_fma_f32 v87, v77, v91, -v70
	v_fmac_f32_e32 v88, v78, v91
	ds_read2_b64 v[77:80], v68 offset0:108 offset1:120
	v_mul_f32_e32 v70, v76, v90
	v_mul_f32_e32 v92, v75, v90
	v_fma_f32 v91, v75, v89, -v70
	v_fmac_f32_e32 v92, v76, v89
	s_waitcnt vmcnt(2) lgkmcnt(0)
	v_mul_f32_e32 v70, v80, v96
	v_mul_f32_e32 v76, v79, v96
	v_fma_f32 v75, v79, v95, -v70
	v_fmac_f32_e32 v76, v80, v95
	s_waitcnt vmcnt(1)
	v_mul_f32_e32 v70, v78, v98
	v_mul_f32_e32 v80, v77, v98
	v_fma_f32 v79, v77, v97, -v70
	v_fmac_f32_e32 v80, v78, v97
	ds_read_b64 v[77:78], v68 offset:1056
	ds_write2_b64 v68, v[103:104], v[101:102] offset0:12 offset1:24
	ds_write2_b64 v68, v[105:106], v[85:86] offset0:36 offset1:48
	;; [unrolled: 1-line block ×5, first 2 shown]
	s_waitcnt vmcnt(0) lgkmcnt(5)
	v_mul_f32_e32 v70, v78, v100
	v_mul_f32_e32 v76, v77, v100
	v_fma_f32 v75, v77, v99, -v70
	v_fmac_f32_e32 v76, v78, v99
	ds_write_b64 v68, v[75:76] offset:1056
	s_waitcnt lgkmcnt(0)
	s_barrier
	ds_read_b64 v[96:97], v69
	ds_read_b64 v[98:99], v68 offset:1056
	ds_read2_b64 v[75:78], v68 offset0:36 offset1:48
	ds_read2_b64 v[79:82], v68 offset0:84 offset1:96
	;; [unrolled: 1-line block ×5, first 2 shown]
	s_waitcnt lgkmcnt(4)
	v_add_f32_e32 v70, v97, v78
	s_waitcnt lgkmcnt(3)
	v_add_f32_e32 v95, v78, v82
	v_fmac_f32_e32 v97, -0.5, v95
	s_waitcnt lgkmcnt(1)
	v_add_f32_e32 v102, v86, v90
	v_add_f32_e32 v95, v85, v89
	s_waitcnt lgkmcnt(0)
	v_fma_f32 v102, -0.5, v102, v94
	v_fma_f32 v100, -0.5, v95, v93
	v_sub_f32_e32 v103, v85, v89
	v_mov_b32_e32 v104, v102
	v_sub_f32_e32 v101, v86, v90
	v_mov_b32_e32 v95, v100
	v_fmac_f32_e32 v104, 0x3f5db3d7, v103
	v_fmac_f32_e32 v95, 0xbf5db3d7, v101
	v_mul_f32_e32 v105, 0xbf5db3d7, v104
	v_mul_f32_e32 v104, 0.5, v104
	v_fmac_f32_e32 v105, 0.5, v95
	v_fmac_f32_e32 v104, 0x3f5db3d7, v95
	v_add_f32_e32 v95, v96, v77
	v_add_f32_e32 v106, v95, v81
	v_add_f32_e32 v95, v77, v81
	v_fma_f32 v107, -0.5, v95, v96
	v_sub_f32_e32 v78, v78, v82
	v_mov_b32_e32 v108, v107
	v_add_f32_e32 v70, v70, v82
	v_sub_f32_e32 v77, v77, v81
	v_mov_b32_e32 v81, v97
	v_add_f32_e32 v82, v93, v85
	v_add_f32_e32 v85, v94, v86
	v_fmac_f32_e32 v108, 0xbf5db3d7, v78
	v_fmac_f32_e32 v81, 0x3f5db3d7, v77
	v_add_f32_e32 v82, v82, v89
	v_add_f32_e32 v85, v85, v90
	;; [unrolled: 1-line block ×6, first 2 shown]
	v_fmac_f32_e32 v102, 0xbf5db3d7, v103
	s_barrier
	ds_write_b128 v74, v[93:96]
	v_sub_f32_e32 v96, v70, v85
	v_fmac_f32_e32 v97, 0xbf5db3d7, v77
	v_fmac_f32_e32 v100, 0x3f5db3d7, v101
	v_mul_f32_e32 v70, 0xbf5db3d7, v102
	v_mul_f32_e32 v77, -0.5, v102
	v_fmac_f32_e32 v107, 0x3f5db3d7, v78
	v_fmac_f32_e32 v70, -0.5, v100
	v_fmac_f32_e32 v77, 0x3f5db3d7, v100
	v_sub_f32_e32 v95, v106, v82
	v_add_f32_e32 v93, v107, v70
	v_add_f32_e32 v94, v97, v77
	v_sub_f32_e32 v85, v80, v99
	v_add_f32_e32 v86, v76, v80
	v_add_f32_e32 v80, v80, v99
	ds_write_b128 v74, v[93:96] offset:16
	v_sub_f32_e32 v96, v97, v77
	v_sub_f32_e32 v93, v108, v105
	;; [unrolled: 1-line block ×4, first 2 shown]
	v_add_f32_e32 v70, v91, v83
	v_sub_f32_e32 v81, v84, v88
	v_add_f32_e32 v77, v92, v84
	v_add_f32_e32 v78, v84, v88
	;; [unrolled: 1-line block ×3, first 2 shown]
	v_fmac_f32_e32 v76, -0.5, v80
	ds_write_b128 v74, v[93:96] offset:32
	v_add_f32_e32 v74, v83, v87
	v_sub_f32_e32 v82, v83, v87
	v_add_f32_e32 v70, v70, v87
	v_add_f32_e32 v83, v77, v88
	;; [unrolled: 1-line block ×3, first 2 shown]
	v_sub_f32_e32 v87, v79, v98
	v_fmac_f32_e32 v92, -0.5, v78
	v_fma_f32 v75, -0.5, v84, v75
	v_mov_b32_e32 v78, v76
	v_add_f32_e32 v88, v77, v98
	v_mov_b32_e32 v77, v75
	v_fmac_f32_e32 v78, 0x3f5db3d7, v87
	v_fma_f32 v90, -0.5, v74, v91
	v_fmac_f32_e32 v77, 0xbf5db3d7, v85
	v_mul_f32_e32 v84, 0xbf5db3d7, v78
	v_mul_f32_e32 v89, 0.5, v78
	v_mov_b32_e32 v91, v90
	v_mov_b32_e32 v93, v92
	v_add_f32_e32 v86, v86, v99
	v_fmac_f32_e32 v84, 0.5, v77
	v_fmac_f32_e32 v89, 0x3f5db3d7, v77
	v_fmac_f32_e32 v91, 0xbf5db3d7, v81
	;; [unrolled: 1-line block ×3, first 2 shown]
	v_add_f32_e32 v77, v70, v88
	v_add_f32_e32 v79, v91, v84
	;; [unrolled: 1-line block ×4, first 2 shown]
	v_fmac_f32_e32 v76, 0xbf5db3d7, v87
	ds_write_b128 v72, v[77:80]
	v_mul_f32_e32 v78, 0xbf5db3d7, v76
	v_mul_f32_e32 v79, -0.5, v76
	v_fmac_f32_e32 v75, 0x3f5db3d7, v85
	v_fmac_f32_e32 v90, 0x3f5db3d7, v81
	;; [unrolled: 1-line block ×3, first 2 shown]
	v_fmac_f32_e32 v78, -0.5, v75
	v_fmac_f32_e32 v79, 0x3f5db3d7, v75
	v_sub_f32_e32 v76, v70, v88
	v_sub_f32_e32 v77, v83, v86
	v_add_f32_e32 v74, v90, v78
	v_add_f32_e32 v75, v92, v79
	ds_write_b128 v72, v[74:77] offset:16
	v_sub_f32_e32 v77, v92, v79
	v_sub_f32_e32 v74, v91, v84
	;; [unrolled: 1-line block ×4, first 2 shown]
	ds_write_b128 v72, v[74:77] offset:32
	s_waitcnt lgkmcnt(0)
	s_barrier
	ds_read2_b64 v[74:77], v68 offset0:108 offset1:120
	s_waitcnt lgkmcnt(0)
	v_mul_f32_e32 v70, v60, v77
	v_mul_f32_e32 v60, v60, v76
	v_fmac_f32_e32 v70, v59, v76
	v_fma_f32 v59, v59, v77, -v60
	ds_read2_b64 v[76:79], v68 offset0:84 offset1:96
	v_mul_f32_e32 v60, v15, v75
	v_fmac_f32_e32 v60, v14, v74
	v_mul_f32_e32 v15, v15, v74
	v_fma_f32 v72, v14, v75, -v15
	s_waitcnt lgkmcnt(0)
	v_mul_f32_e32 v74, v13, v77
	v_mul_f32_e32 v13, v13, v76
	v_fmac_f32_e32 v74, v12, v76
	v_fma_f32 v75, v12, v77, -v13
	ds_read2_b64 v[12:15], v68 offset0:60 offset1:72
	v_mul_f32_e32 v76, v11, v79
	v_fmac_f32_e32 v76, v10, v78
	v_mul_f32_e32 v11, v11, v78
	v_fma_f32 v77, v10, v79, -v11
	s_waitcnt lgkmcnt(0)
	v_mul_f32_e32 v78, v9, v15
	v_mul_f32_e32 v9, v9, v14
	v_fmac_f32_e32 v78, v8, v14
	v_fma_f32 v14, v8, v15, -v9
	ds_read2_b64 v[8:11], v68 offset0:36 offset1:48
	v_mul_f32_e32 v15, v7, v13
	v_mul_f32_e32 v7, v7, v12
	v_fmac_f32_e32 v15, v6, v12
	v_fma_f32 v79, v6, v13, -v7
	s_waitcnt lgkmcnt(0)
	v_mul_f32_e32 v80, v5, v9
	v_mul_f32_e32 v5, v5, v8
	v_fmac_f32_e32 v80, v4, v8
	v_fma_f32 v81, v4, v9, -v5
	ds_read2_b64 v[4:7], v68 offset0:12 offset1:24
	v_mul_f32_e32 v8, v3, v11
	v_mul_f32_e32 v3, v3, v10
	v_fmac_f32_e32 v8, v2, v10
	v_fma_f32 v10, v2, v11, -v3
	ds_read_b64 v[2:3], v68 offset:1056
	s_waitcnt lgkmcnt(1)
	v_mul_f32_e32 v9, v1, v7
	v_mul_f32_e32 v1, v1, v6
	v_fmac_f32_e32 v9, v0, v6
	v_fma_f32 v6, v0, v7, -v1
	ds_read_b64 v[0:1], v69
	s_waitcnt lgkmcnt(1)
	v_mul_f32_e32 v82, v54, v3
	v_fmac_f32_e32 v82, v53, v2
	v_mul_f32_e32 v2, v54, v2
	v_fma_f32 v2, v53, v3, -v2
	v_add_f32_e32 v3, v79, v72
	v_add_f32_e32 v83, v5, v79
	v_fmac_f32_e32 v5, -0.5, v3
	v_add_f32_e32 v3, v74, v82
	v_add_f32_e32 v84, v80, v74
	v_fmac_f32_e32 v80, -0.5, v3
	;; [unrolled: 3-line block ×3, first 2 shown]
	v_sub_f32_e32 v74, v74, v82
	v_sub_f32_e32 v75, v75, v2
	v_mov_b32_e32 v90, v81
	v_fmac_f32_e32 v81, 0xbf5db3d7, v74
	v_sub_f32_e32 v87, v15, v60
	v_mov_b32_e32 v89, v80
	v_fmac_f32_e32 v80, 0x3f5db3d7, v75
	v_mul_f32_e32 v7, -0.5, v81
	v_add_f32_e32 v3, v15, v60
	v_mov_b32_e32 v88, v5
	v_fmac_f32_e32 v5, 0xbf5db3d7, v87
	v_fmac_f32_e32 v7, 0x3f5db3d7, v80
	v_fma_f32 v86, -0.5, v3, v4
	v_add_f32_e32 v3, v5, v7
	v_sub_f32_e32 v5, v5, v7
	v_add_f32_e32 v7, v10, v77
	s_waitcnt lgkmcnt(0)
	v_add_f32_e32 v11, v1, v10
	v_fmac_f32_e32 v1, -0.5, v7
	v_add_f32_e32 v7, v78, v70
	v_add_f32_e32 v12, v9, v78
	v_fmac_f32_e32 v9, -0.5, v7
	v_add_f32_e32 v7, v14, v59
	v_add_f32_e32 v13, v6, v14
	v_fmac_f32_e32 v6, -0.5, v7
	v_sub_f32_e32 v53, v78, v70
	v_sub_f32_e32 v14, v14, v59
	v_mov_b32_e32 v54, v6
	v_fmac_f32_e32 v6, 0xbf5db3d7, v53
	v_add_f32_e32 v4, v4, v15
	v_mov_b32_e32 v15, v9
	v_fmac_f32_e32 v9, 0x3f5db3d7, v14
	v_mul_f32_e32 v78, 0xbf5db3d7, v6
	v_mul_f32_e32 v6, -0.5, v6
	v_add_f32_e32 v7, v8, v76
	v_sub_f32_e32 v92, v8, v76
	v_fmac_f32_e32 v6, 0x3f5db3d7, v9
	v_fma_f32 v91, -0.5, v7, v0
	v_mov_b32_e32 v93, v1
	v_fmac_f32_e32 v1, 0xbf5db3d7, v92
	v_fmac_f32_e32 v78, -0.5, v9
	v_add_f32_e32 v0, v0, v8
	v_add_f32_e32 v7, v1, v6
	v_sub_f32_e32 v9, v1, v6
	v_sub_f32_e32 v1, v10, v77
	v_mov_b32_e32 v94, v91
	v_fmac_f32_e32 v54, 0x3f5db3d7, v53
	v_fmac_f32_e32 v91, 0x3f5db3d7, v1
	v_add_f32_e32 v0, v0, v76
	v_add_f32_e32 v12, v12, v70
	v_fmac_f32_e32 v94, 0xbf5db3d7, v1
	v_fmac_f32_e32 v15, 0xbf5db3d7, v14
	v_mul_f32_e32 v1, 0.5, v54
	v_add_f32_e32 v10, v0, v12
	v_sub_f32_e32 v12, v0, v12
	v_fmac_f32_e32 v93, 0x3f5db3d7, v92
	v_mul_f32_e32 v0, 0xbf5db3d7, v54
	v_fmac_f32_e32 v1, 0x3f5db3d7, v15
	v_fmac_f32_e32 v0, 0.5, v15
	v_add_f32_e32 v15, v93, v1
	v_sub_f32_e32 v54, v93, v1
	v_sub_f32_e32 v1, v79, v72
	v_mov_b32_e32 v70, v86
	v_add_f32_e32 v14, v94, v0
	v_sub_f32_e32 v53, v94, v0
	v_add_f32_e32 v0, v4, v60
	v_fmac_f32_e32 v70, 0xbf5db3d7, v1
	v_fmac_f32_e32 v86, 0x3f5db3d7, v1
	v_add_f32_e32 v1, v83, v72
	v_add_f32_e32 v72, v84, v82
	v_fmac_f32_e32 v90, 0x3f5db3d7, v74
	v_add_f32_e32 v6, v91, v78
	v_sub_f32_e32 v8, v91, v78
	v_add_f32_e32 v13, v13, v59
	v_fmac_f32_e32 v89, 0xbf5db3d7, v75
	v_mul_f32_e32 v4, 0xbf5db3d7, v81
	v_add_f32_e32 v59, v0, v72
	v_mul_f32_e32 v78, 0xbf5db3d7, v90
	v_sub_f32_e32 v74, v0, v72
	v_mul_f32_e32 v0, 0.5, v90
	v_add_f32_e32 v76, v11, v77
	v_fmac_f32_e32 v88, 0x3f5db3d7, v87
	v_add_f32_e32 v75, v85, v2
	v_fmac_f32_e32 v4, -0.5, v80
	v_fmac_f32_e32 v78, 0.5, v89
	v_fmac_f32_e32 v0, 0x3f5db3d7, v89
	v_add_f32_e32 v11, v76, v13
	v_sub_f32_e32 v13, v76, v13
	v_add_f32_e32 v2, v86, v4
	v_sub_f32_e32 v4, v86, v4
	;; [unrolled: 2-line block ×3, first 2 shown]
	v_add_f32_e32 v76, v70, v78
	v_add_f32_e32 v77, v88, v0
	v_sub_f32_e32 v78, v70, v78
	v_sub_f32_e32 v79, v88, v0
	s_barrier
	ds_write2_b64 v71, v[10:11], v[14:15] offset1:6
	ds_write2_b64 v71, v[6:7], v[12:13] offset0:12 offset1:18
	ds_write2_b64 v71, v[53:54], v[8:9] offset0:24 offset1:30
	ds_write2_b64 v73, v[59:60], v[76:77] offset1:6
	ds_write2_b64 v73, v[2:3], v[74:75] offset0:12 offset1:18
	ds_write2_b64 v73, v[78:79], v[4:5] offset0:24 offset1:30
	s_waitcnt lgkmcnt(0)
	s_barrier
	ds_read2_b64 v[2:5], v68 offset0:36 offset1:48
	ds_read2_b64 v[6:9], v68 offset0:60 offset1:72
	;; [unrolled: 1-line block ×5, first 2 shown]
	s_waitcnt lgkmcnt(4)
	v_mul_f32_e32 v14, v25, v3
	v_fmac_f32_e32 v14, v24, v2
	v_mul_f32_e32 v2, v25, v2
	v_fma_f32 v15, v24, v3, -v2
	s_waitcnt lgkmcnt(3)
	v_mul_f32_e32 v24, v27, v9
	v_mul_f32_e32 v2, v27, v8
	v_fmac_f32_e32 v24, v26, v8
	v_fma_f32 v25, v26, v9, -v2
	s_waitcnt lgkmcnt(2)
	v_mul_f32_e32 v26, v56, v11
	v_fmac_f32_e32 v26, v55, v10
	v_mul_f32_e32 v10, v56, v10
	v_fma_f32 v10, v55, v11, -v10
	v_mul_f32_e32 v11, v17, v5
	ds_read_b64 v[2:3], v69
	ds_read_b64 v[8:9], v68 offset:1056
	v_fmac_f32_e32 v11, v16, v4
	v_mul_f32_e32 v4, v17, v4
	v_fma_f32 v16, v16, v5, -v4
	s_waitcnt lgkmcnt(2)
	v_mul_f32_e32 v17, v19, v75
	v_mul_f32_e32 v4, v19, v74
	v_fmac_f32_e32 v17, v18, v74
	v_fma_f32 v18, v18, v75, -v4
	v_mul_f32_e32 v19, v58, v13
	v_mul_f32_e32 v4, v58, v12
	v_fmac_f32_e32 v19, v57, v12
	v_fma_f32 v12, v57, v13, -v4
	;; [unrolled: 4-line block ×4, first 2 shown]
	s_waitcnt lgkmcnt(0)
	v_mul_f32_e32 v4, v62, v8
	v_mul_f32_e32 v23, v62, v9
	v_fma_f32 v53, v61, v9, -v4
	v_sub_f32_e32 v9, v3, v25
	v_sub_f32_e32 v6, v15, v10
	v_fmac_f32_e32 v23, v61, v8
	v_sub_f32_e32 v8, v2, v24
	v_fma_f32 v5, v3, 2.0, -v9
	v_sub_f32_e32 v7, v14, v26
	v_fma_f32 v3, v15, 2.0, -v6
	v_sub_f32_e32 v17, v70, v17
	v_sub_f32_e32 v18, v71, v18
	;; [unrolled: 1-line block ×4, first 2 shown]
	v_fma_f32 v4, v2, 2.0, -v8
	v_fma_f32 v2, v14, 2.0, -v7
	;; [unrolled: 1-line block ×6, first 2 shown]
	v_sub_f32_e32 v10, v13, v10
	v_sub_f32_e32 v11, v14, v11
	v_fma_f32 v12, v13, 2.0, -v10
	v_fma_f32 v13, v14, 2.0, -v11
	v_add_f32_e32 v14, v17, v19
	v_sub_f32_e32 v15, v18, v15
	v_sub_f32_e32 v24, v72, v21
	;; [unrolled: 1-line block ×5, first 2 shown]
	v_fma_f32 v16, v17, 2.0, -v14
	v_fma_f32 v17, v18, 2.0, -v15
	;; [unrolled: 1-line block ×6, first 2 shown]
	v_sub_f32_e32 v2, v4, v2
	v_sub_f32_e32 v3, v5, v3
	;; [unrolled: 1-line block ×4, first 2 shown]
	v_fma_f32 v4, v4, 2.0, -v2
	v_fma_f32 v5, v5, 2.0, -v3
	v_add_f32_e32 v6, v8, v6
	v_sub_f32_e32 v7, v9, v7
	v_fma_f32 v20, v21, 2.0, -v18
	v_fma_f32 v21, v22, 2.0, -v19
	v_add_f32_e32 v22, v24, v26
	v_sub_f32_e32 v23, v25, v23
	v_fma_f32 v8, v8, 2.0, -v6
	v_fma_f32 v9, v9, 2.0, -v7
	;; [unrolled: 1-line block ×4, first 2 shown]
	ds_write_b64 v69, v[4:5]
	ds_write_b64 v68, v[2:3] offset:576
	ds_write_b64 v68, v[6:7] offset:864
	ds_write2_b64 v68, v[8:9], v[16:17] offset0:36 offset1:48
	ds_write_b64 v68, v[14:15] offset:960
	ds_write2_b64 v68, v[12:13], v[20:21] offset0:12 offset1:24
	;; [unrolled: 2-line block ×3, first 2 shown]
	ds_write_b64 v68, v[22:23] offset:1056
	s_waitcnt lgkmcnt(0)
	s_barrier
	ds_read_b64 v[2:3], v69
	ds_read_b64 v[14:15], v68 offset:1056
	v_mad_u64_u32 v[0:1], s[6:7], s2, v52, 0
	v_mad_u64_u32 v[7:8], s[6:7], s0, v63, 0
	s_waitcnt lgkmcnt(1)
	v_mad_u64_u32 v[4:5], s[2:3], s3, v52, v[1:2]
	v_mul_f32_e32 v1, v29, v3
	v_fmac_f32_e32 v1, v28, v2
	v_cvt_f64_f32_e32 v[5:6], v1
	s_mov_b32 s2, 0x1c71c71c
	s_mov_b32 s3, 0x3f7c71c7
	v_mul_f32_e32 v1, v29, v2
	v_fma_f32 v1, v28, v3, -v1
	v_mul_f64 v[5:6], v[5:6], s[2:3]
	v_cvt_f64_f32_e32 v[1:2], v1
	v_mul_f64 v[9:10], v[1:2], s[2:3]
	v_mov_b32_e32 v2, v8
	v_mad_u64_u32 v[11:12], s[6:7], s1, v63, v[2:3]
	v_mov_b32_e32 v1, v4
	v_cvt_f32_f64_e32 v12, v[5:6]
	ds_read2_b64 v[2:5], v68 offset0:12 offset1:24
	v_lshlrev_b64 v[0:1], 3, v[0:1]
	v_cvt_f32_f64_e32 v13, v[9:10]
	v_mov_b32_e32 v6, s5
	v_add_co_u32_e32 v25, vcc, s4, v0
	s_waitcnt lgkmcnt(0)
	v_mul_f32_e32 v9, v37, v5
	v_fmac_f32_e32 v9, v36, v4
	v_mul_f32_e32 v4, v37, v4
	v_fma_f32 v4, v36, v5, -v4
	v_cvt_f64_f32_e32 v[9:10], v9
	v_cvt_f64_f32_e32 v[4:5], v4
	v_addc_co_u32_e32 v26, vcc, v6, v1, vcc
	v_mul_f64 v[0:1], v[9:10], s[2:3]
	v_mul_f64 v[4:5], v[4:5], s[2:3]
	v_mov_b32_e32 v8, v11
	v_lshlrev_b64 v[6:7], 3, v[7:8]
	s_mul_i32 s4, s1, 0xc0
	v_add_co_u32_e32 v8, vcc, v25, v6
	v_addc_co_u32_e32 v9, vcc, v26, v7, vcc
	v_cvt_f32_f64_e32 v0, v[0:1]
	v_cvt_f32_f64_e32 v1, v[4:5]
	ds_read2_b64 v[4:7], v68 offset0:36 offset1:48
	s_mul_hi_u32 s5, s0, 0xc0
	s_add_i32 s6, s5, s4
	s_mul_i32 s7, s0, 0xc0
	global_store_dwordx2 v[8:9], v[12:13], off
	s_waitcnt lgkmcnt(0)
	v_mul_f32_e32 v10, v31, v7
	v_fmac_f32_e32 v10, v30, v6
	v_cvt_f64_f32_e32 v[10:11], v10
	v_mul_f32_e32 v6, v31, v6
	v_fma_f32 v6, v30, v7, -v6
	v_cvt_f64_f32_e32 v[6:7], v6
	v_mul_f64 v[10:11], v[10:11], s[2:3]
	v_mov_b32_e32 v13, s6
	v_add_co_u32_e32 v12, vcc, s7, v8
	v_addc_co_u32_e32 v13, vcc, v9, v13, vcc
	v_mul_f64 v[16:17], v[6:7], s[2:3]
	ds_read2_b64 v[6:9], v68 offset0:60 offset1:72
	global_store_dwordx2 v[12:13], v[0:1], off
	v_mad_u64_u32 v[0:1], s[4:5], s0, v65, 0
	v_cvt_f32_f64_e32 v18, v[10:11]
	v_mad_u64_u32 v[10:11], s[4:5], s1, v65, v[1:2]
	s_waitcnt lgkmcnt(0)
	v_mul_f32_e32 v1, v35, v9
	v_fmac_f32_e32 v1, v34, v8
	v_mul_f32_e32 v8, v35, v8
	v_fma_f32 v8, v34, v9, -v8
	v_cvt_f64_f32_e32 v[20:21], v1
	v_cvt_f64_f32_e32 v[8:9], v8
	v_cvt_f32_f64_e32 v19, v[16:17]
	v_mov_b32_e32 v1, v10
	v_mul_f64 v[16:17], v[20:21], s[2:3]
	v_mul_f64 v[20:21], v[8:9], s[2:3]
	ds_read2_b64 v[8:11], v68 offset0:84 offset1:96
	v_lshlrev_b64 v[0:1], 3, v[0:1]
	v_add_co_u32_e32 v0, vcc, v25, v0
	v_addc_co_u32_e32 v1, vcc, v26, v1, vcc
	global_store_dwordx2 v[0:1], v[18:19], off
	s_waitcnt lgkmcnt(0)
	v_mul_f32_e32 v1, v39, v11
	v_fmac_f32_e32 v1, v38, v10
	v_mul_f32_e32 v10, v39, v10
	v_fma_f32 v10, v38, v11, -v10
	v_cvt_f32_f64_e32 v0, v[16:17]
	v_mad_u64_u32 v[16:17], s[4:5], s0, v64, v[12:13]
	v_cvt_f64_f32_e32 v[12:13], v1
	v_cvt_f64_f32_e32 v[10:11], v10
	v_cvt_f32_f64_e32 v1, v[20:21]
	v_add_u32_e32 v17, s8, v17
	v_mul_f64 v[18:19], v[12:13], s[2:3]
	v_mul_f64 v[20:21], v[10:11], s[2:3]
	ds_read2_b64 v[10:13], v68 offset0:108 offset1:120
	global_store_dwordx2 v[16:17], v[0:1], off
	v_mad_u64_u32 v[0:1], s[4:5], s0, v66, 0
	v_mad_u64_u32 v[16:17], s[4:5], s0, v64, v[16:17]
	;; [unrolled: 1-line block ×3, first 2 shown]
	s_waitcnt lgkmcnt(0)
	v_mul_f32_e32 v1, v33, v13
	v_fmac_f32_e32 v1, v32, v12
	v_mul_f32_e32 v12, v33, v12
	v_fma_f32 v12, v32, v13, -v12
	v_cvt_f64_f32_e32 v[12:13], v12
	v_cvt_f64_f32_e32 v[23:24], v1
	v_mov_b32_e32 v1, v22
	v_cvt_f32_f64_e32 v18, v[18:19]
	v_cvt_f32_f64_e32 v19, v[20:21]
	v_lshlrev_b64 v[0:1], 3, v[0:1]
	v_mul_f64 v[12:13], v[12:13], s[2:3]
	v_add_co_u32_e32 v0, vcc, v25, v0
	v_addc_co_u32_e32 v1, vcc, v26, v1, vcc
	global_store_dwordx2 v[0:1], v[18:19], off
	v_mul_f32_e32 v1, v45, v3
	v_fmac_f32_e32 v1, v44, v2
	v_cvt_f64_f32_e32 v[18:19], v1
	v_mul_f64 v[20:21], v[23:24], s[2:3]
	v_mul_f32_e32 v1, v45, v2
	v_fma_f32 v1, v44, v3, -v1
	v_cvt_f64_f32_e32 v[2:3], v1
	v_cvt_f32_f64_e32 v1, v[12:13]
	v_mul_f64 v[12:13], v[18:19], s[2:3]
	v_mul_f32_e32 v18, v41, v5
	v_fmac_f32_e32 v18, v40, v4
	v_mul_f32_e32 v4, v41, v4
	v_fma_f32 v4, v40, v5, -v4
	v_mul_f64 v[2:3], v[2:3], s[2:3]
	v_cvt_f64_f32_e32 v[4:5], v4
	v_cvt_f32_f64_e32 v0, v[20:21]
	v_cvt_f64_f32_e32 v[18:19], v18
	v_add_u32_e32 v17, s8, v17
	v_mul_f64 v[4:5], v[4:5], s[2:3]
	global_store_dwordx2 v[16:17], v[0:1], off
	v_cvt_f32_f64_e32 v0, v[12:13]
	v_mul_f64 v[12:13], v[18:19], s[2:3]
	v_mad_u64_u32 v[16:17], s[4:5], s0, v67, v[16:17]
	v_cvt_f32_f64_e32 v1, v[2:3]
	s_mulk_i32 s1, 0xfca0
	s_sub_i32 s0, s1, s0
	v_add_u32_e32 v17, s0, v17
	global_store_dwordx2 v[16:17], v[0:1], off
	v_cvt_f32_f64_e32 v1, v[4:5]
	v_mul_f32_e32 v2, v49, v7
	v_mul_f32_e32 v4, v49, v6
	v_fmac_f32_e32 v2, v48, v6
	v_fma_f32 v4, v48, v7, -v4
	v_cvt_f32_f64_e32 v0, v[12:13]
	v_cvt_f64_f32_e32 v[2:3], v2
	v_cvt_f64_f32_e32 v[4:5], v4
	v_mov_b32_e32 v12, s6
	v_add_co_u32_e32 v6, vcc, s7, v16
	v_addc_co_u32_e32 v7, vcc, v17, v12, vcc
	global_store_dwordx2 v[6:7], v[0:1], off
	v_mul_f64 v[0:1], v[2:3], s[2:3]
	v_mul_f64 v[2:3], v[4:5], s[2:3]
	v_mul_f32_e32 v4, v43, v9
	v_fmac_f32_e32 v4, v42, v8
	v_mul_f32_e32 v8, v43, v8
	v_fma_f32 v8, v42, v9, -v8
	v_cvt_f64_f32_e32 v[4:5], v4
	v_cvt_f64_f32_e32 v[8:9], v8
	v_cvt_f32_f64_e32 v0, v[0:1]
	v_cvt_f32_f64_e32 v1, v[2:3]
	v_mul_f64 v[2:3], v[4:5], s[2:3]
	v_mul_f64 v[4:5], v[8:9], s[2:3]
	v_mov_b32_e32 v8, s6
	v_add_co_u32_e32 v6, vcc, s7, v6
	v_addc_co_u32_e32 v7, vcc, v7, v8, vcc
	global_store_dwordx2 v[6:7], v[0:1], off
	v_cvt_f32_f64_e32 v0, v[2:3]
	v_cvt_f32_f64_e32 v1, v[4:5]
	v_mul_f32_e32 v2, v51, v11
	v_mul_f32_e32 v4, v51, v10
	v_fmac_f32_e32 v2, v50, v10
	v_fma_f32 v4, v50, v11, -v4
	v_cvt_f64_f32_e32 v[2:3], v2
	v_cvt_f64_f32_e32 v[4:5], v4
	v_add_co_u32_e32 v6, vcc, s7, v6
	v_addc_co_u32_e32 v7, vcc, v7, v8, vcc
	global_store_dwordx2 v[6:7], v[0:1], off
	v_mul_f64 v[0:1], v[2:3], s[2:3]
	v_mul_f64 v[2:3], v[4:5], s[2:3]
	v_mul_f32_e32 v4, v47, v15
	v_mul_f32_e32 v8, v47, v14
	v_fmac_f32_e32 v4, v46, v14
	v_fma_f32 v8, v46, v15, -v8
	v_cvt_f64_f32_e32 v[4:5], v4
	v_cvt_f64_f32_e32 v[8:9], v8
	v_cvt_f32_f64_e32 v0, v[0:1]
	v_cvt_f32_f64_e32 v1, v[2:3]
	v_mul_f64 v[2:3], v[4:5], s[2:3]
	v_mul_f64 v[4:5], v[8:9], s[2:3]
	v_mov_b32_e32 v8, s6
	v_add_co_u32_e32 v6, vcc, s7, v6
	v_addc_co_u32_e32 v7, vcc, v7, v8, vcc
	global_store_dwordx2 v[6:7], v[0:1], off
	v_cvt_f32_f64_e32 v0, v[2:3]
	v_cvt_f32_f64_e32 v1, v[4:5]
	v_mov_b32_e32 v3, s6
	v_add_co_u32_e32 v2, vcc, s7, v6
	v_addc_co_u32_e32 v3, vcc, v7, v3, vcc
	global_store_dwordx2 v[2:3], v[0:1], off
.LBB0_2:
	s_endpgm
	.section	.rodata,"a",@progbits
	.p2align	6, 0x0
	.amdhsa_kernel bluestein_single_back_len144_dim1_sp_op_CI_CI
		.amdhsa_group_segment_fixed_size 11520
		.amdhsa_private_segment_fixed_size 0
		.amdhsa_kernarg_size 104
		.amdhsa_user_sgpr_count 6
		.amdhsa_user_sgpr_private_segment_buffer 1
		.amdhsa_user_sgpr_dispatch_ptr 0
		.amdhsa_user_sgpr_queue_ptr 0
		.amdhsa_user_sgpr_kernarg_segment_ptr 1
		.amdhsa_user_sgpr_dispatch_id 0
		.amdhsa_user_sgpr_flat_scratch_init 0
		.amdhsa_user_sgpr_private_segment_size 0
		.amdhsa_uses_dynamic_stack 0
		.amdhsa_system_sgpr_private_segment_wavefront_offset 0
		.amdhsa_system_sgpr_workgroup_id_x 1
		.amdhsa_system_sgpr_workgroup_id_y 0
		.amdhsa_system_sgpr_workgroup_id_z 0
		.amdhsa_system_sgpr_workgroup_info 0
		.amdhsa_system_vgpr_workitem_id 0
		.amdhsa_next_free_vgpr 109
		.amdhsa_next_free_sgpr 20
		.amdhsa_reserve_vcc 1
		.amdhsa_reserve_flat_scratch 0
		.amdhsa_float_round_mode_32 0
		.amdhsa_float_round_mode_16_64 0
		.amdhsa_float_denorm_mode_32 3
		.amdhsa_float_denorm_mode_16_64 3
		.amdhsa_dx10_clamp 1
		.amdhsa_ieee_mode 1
		.amdhsa_fp16_overflow 0
		.amdhsa_exception_fp_ieee_invalid_op 0
		.amdhsa_exception_fp_denorm_src 0
		.amdhsa_exception_fp_ieee_div_zero 0
		.amdhsa_exception_fp_ieee_overflow 0
		.amdhsa_exception_fp_ieee_underflow 0
		.amdhsa_exception_fp_ieee_inexact 0
		.amdhsa_exception_int_div_zero 0
	.end_amdhsa_kernel
	.text
.Lfunc_end0:
	.size	bluestein_single_back_len144_dim1_sp_op_CI_CI, .Lfunc_end0-bluestein_single_back_len144_dim1_sp_op_CI_CI
                                        ; -- End function
	.section	.AMDGPU.csdata,"",@progbits
; Kernel info:
; codeLenInByte = 7232
; NumSgprs: 24
; NumVgprs: 109
; ScratchSize: 0
; MemoryBound: 0
; FloatMode: 240
; IeeeMode: 1
; LDSByteSize: 11520 bytes/workgroup (compile time only)
; SGPRBlocks: 2
; VGPRBlocks: 27
; NumSGPRsForWavesPerEU: 24
; NumVGPRsForWavesPerEU: 109
; Occupancy: 2
; WaveLimiterHint : 1
; COMPUTE_PGM_RSRC2:SCRATCH_EN: 0
; COMPUTE_PGM_RSRC2:USER_SGPR: 6
; COMPUTE_PGM_RSRC2:TRAP_HANDLER: 0
; COMPUTE_PGM_RSRC2:TGID_X_EN: 1
; COMPUTE_PGM_RSRC2:TGID_Y_EN: 0
; COMPUTE_PGM_RSRC2:TGID_Z_EN: 0
; COMPUTE_PGM_RSRC2:TIDIG_COMP_CNT: 0
	.type	__hip_cuid_b0a06d7e920bb081,@object ; @__hip_cuid_b0a06d7e920bb081
	.section	.bss,"aw",@nobits
	.globl	__hip_cuid_b0a06d7e920bb081
__hip_cuid_b0a06d7e920bb081:
	.byte	0                               ; 0x0
	.size	__hip_cuid_b0a06d7e920bb081, 1

	.ident	"AMD clang version 19.0.0git (https://github.com/RadeonOpenCompute/llvm-project roc-6.4.0 25133 c7fe45cf4b819c5991fe208aaa96edf142730f1d)"
	.section	".note.GNU-stack","",@progbits
	.addrsig
	.addrsig_sym __hip_cuid_b0a06d7e920bb081
	.amdgpu_metadata
---
amdhsa.kernels:
  - .args:
      - .actual_access:  read_only
        .address_space:  global
        .offset:         0
        .size:           8
        .value_kind:     global_buffer
      - .actual_access:  read_only
        .address_space:  global
        .offset:         8
        .size:           8
        .value_kind:     global_buffer
      - .actual_access:  read_only
        .address_space:  global
        .offset:         16
        .size:           8
        .value_kind:     global_buffer
      - .actual_access:  read_only
        .address_space:  global
        .offset:         24
        .size:           8
        .value_kind:     global_buffer
      - .actual_access:  read_only
        .address_space:  global
        .offset:         32
        .size:           8
        .value_kind:     global_buffer
      - .offset:         40
        .size:           8
        .value_kind:     by_value
      - .address_space:  global
        .offset:         48
        .size:           8
        .value_kind:     global_buffer
      - .address_space:  global
        .offset:         56
        .size:           8
        .value_kind:     global_buffer
      - .address_space:  global
        .offset:         64
        .size:           8
        .value_kind:     global_buffer
      - .address_space:  global
        .offset:         72
        .size:           8
        .value_kind:     global_buffer
      - .offset:         80
        .size:           4
        .value_kind:     by_value
      - .address_space:  global
        .offset:         88
        .size:           8
        .value_kind:     global_buffer
      - .address_space:  global
        .offset:         96
        .size:           8
        .value_kind:     global_buffer
    .group_segment_fixed_size: 11520
    .kernarg_segment_align: 8
    .kernarg_segment_size: 104
    .language:       OpenCL C
    .language_version:
      - 2
      - 0
    .max_flat_workgroup_size: 120
    .name:           bluestein_single_back_len144_dim1_sp_op_CI_CI
    .private_segment_fixed_size: 0
    .sgpr_count:     24
    .sgpr_spill_count: 0
    .symbol:         bluestein_single_back_len144_dim1_sp_op_CI_CI.kd
    .uniform_work_group_size: 1
    .uses_dynamic_stack: false
    .vgpr_count:     109
    .vgpr_spill_count: 0
    .wavefront_size: 64
amdhsa.target:   amdgcn-amd-amdhsa--gfx906
amdhsa.version:
  - 1
  - 2
...

	.end_amdgpu_metadata
